;; amdgpu-corpus repo=ROCm/rocFFT kind=compiled arch=gfx1030 opt=O3
	.text
	.amdgcn_target "amdgcn-amd-amdhsa--gfx1030"
	.amdhsa_code_object_version 6
	.protected	fft_rtc_back_len175_factors_5_5_7_wgs_245_tpt_35_half_ip_CI_sbrr_dirReg ; -- Begin function fft_rtc_back_len175_factors_5_5_7_wgs_245_tpt_35_half_ip_CI_sbrr_dirReg
	.globl	fft_rtc_back_len175_factors_5_5_7_wgs_245_tpt_35_half_ip_CI_sbrr_dirReg
	.p2align	8
	.type	fft_rtc_back_len175_factors_5_5_7_wgs_245_tpt_35_half_ip_CI_sbrr_dirReg,@function
fft_rtc_back_len175_factors_5_5_7_wgs_245_tpt_35_half_ip_CI_sbrr_dirReg: ; @fft_rtc_back_len175_factors_5_5_7_wgs_245_tpt_35_half_ip_CI_sbrr_dirReg
; %bb.0:
	s_clause 0x1
	s_load_dwordx2 s[14:15], s[4:5], 0x18
	s_load_dwordx4 s[8:11], s[4:5], 0x0
	v_mul_u32_u24_e32 v1, 0x751, v0
	v_mov_b32_e32 v5, 0
	v_mov_b32_e32 v6, 0
	s_load_dwordx2 s[2:3], s[4:5], 0x50
	s_waitcnt lgkmcnt(0)
	s_load_dwordx2 s[12:13], s[14:15], 0x0
	v_lshrrev_b32_e32 v2, 16, v1
	v_mov_b32_e32 v1, 0
	v_cmp_lt_u64_e64 s0, s[10:11], 2
	v_mad_u64_u32 v[3:4], null, s6, 7, v[2:3]
	v_mov_b32_e32 v4, v1
	s_and_b32 vcc_lo, exec_lo, s0
	v_mov_b32_e32 v10, v4
	v_mov_b32_e32 v9, v3
	s_cbranch_vccnz .LBB0_8
; %bb.1:
	s_load_dwordx2 s[0:1], s[4:5], 0x10
	v_mov_b32_e32 v5, 0
	v_mov_b32_e32 v8, v4
	s_add_u32 s6, s14, 8
	v_mov_b32_e32 v6, 0
	v_mov_b32_e32 v7, v3
	s_addc_u32 s7, s15, 0
	s_mov_b64 s[18:19], 1
	s_waitcnt lgkmcnt(0)
	s_add_u32 s16, s0, 8
	s_addc_u32 s17, s1, 0
.LBB0_2:                                ; =>This Inner Loop Header: Depth=1
	s_load_dwordx2 s[20:21], s[16:17], 0x0
                                        ; implicit-def: $vgpr9_vgpr10
	s_mov_b32 s0, exec_lo
	s_waitcnt lgkmcnt(0)
	v_or_b32_e32 v2, s21, v8
	v_cmpx_ne_u64_e32 0, v[1:2]
	s_xor_b32 s1, exec_lo, s0
	s_cbranch_execz .LBB0_4
; %bb.3:                                ;   in Loop: Header=BB0_2 Depth=1
	v_cvt_f32_u32_e32 v2, s20
	v_cvt_f32_u32_e32 v4, s21
	s_sub_u32 s0, 0, s20
	s_subb_u32 s22, 0, s21
	v_fmac_f32_e32 v2, 0x4f800000, v4
	v_rcp_f32_e32 v2, v2
	v_mul_f32_e32 v2, 0x5f7ffffc, v2
	v_mul_f32_e32 v4, 0x2f800000, v2
	v_trunc_f32_e32 v4, v4
	v_fmac_f32_e32 v2, 0xcf800000, v4
	v_cvt_u32_f32_e32 v4, v4
	v_cvt_u32_f32_e32 v2, v2
	v_mul_lo_u32 v9, s0, v4
	v_mul_hi_u32 v10, s0, v2
	v_mul_lo_u32 v11, s22, v2
	v_add_nc_u32_e32 v9, v10, v9
	v_mul_lo_u32 v10, s0, v2
	v_add_nc_u32_e32 v9, v9, v11
	v_mul_hi_u32 v11, v2, v10
	v_mul_lo_u32 v12, v2, v9
	v_mul_hi_u32 v13, v2, v9
	v_mul_hi_u32 v14, v4, v10
	v_mul_lo_u32 v10, v4, v10
	v_mul_hi_u32 v15, v4, v9
	v_mul_lo_u32 v9, v4, v9
	v_add_co_u32 v11, vcc_lo, v11, v12
	v_add_co_ci_u32_e32 v12, vcc_lo, 0, v13, vcc_lo
	v_add_co_u32 v10, vcc_lo, v11, v10
	v_add_co_ci_u32_e32 v10, vcc_lo, v12, v14, vcc_lo
	v_add_co_ci_u32_e32 v11, vcc_lo, 0, v15, vcc_lo
	v_add_co_u32 v9, vcc_lo, v10, v9
	v_add_co_ci_u32_e32 v10, vcc_lo, 0, v11, vcc_lo
	v_add_co_u32 v2, vcc_lo, v2, v9
	v_add_co_ci_u32_e32 v4, vcc_lo, v4, v10, vcc_lo
	v_mul_hi_u32 v9, s0, v2
	v_mul_lo_u32 v11, s22, v2
	v_mul_lo_u32 v10, s0, v4
	v_add_nc_u32_e32 v9, v9, v10
	v_mul_lo_u32 v10, s0, v2
	v_add_nc_u32_e32 v9, v9, v11
	v_mul_hi_u32 v11, v2, v10
	v_mul_lo_u32 v12, v2, v9
	v_mul_hi_u32 v13, v2, v9
	v_mul_hi_u32 v14, v4, v10
	v_mul_lo_u32 v10, v4, v10
	v_mul_hi_u32 v15, v4, v9
	v_mul_lo_u32 v9, v4, v9
	v_add_co_u32 v11, vcc_lo, v11, v12
	v_add_co_ci_u32_e32 v12, vcc_lo, 0, v13, vcc_lo
	v_add_co_u32 v10, vcc_lo, v11, v10
	v_add_co_ci_u32_e32 v10, vcc_lo, v12, v14, vcc_lo
	v_add_co_ci_u32_e32 v11, vcc_lo, 0, v15, vcc_lo
	v_add_co_u32 v9, vcc_lo, v10, v9
	v_add_co_ci_u32_e32 v10, vcc_lo, 0, v11, vcc_lo
	v_add_co_u32 v2, vcc_lo, v2, v9
	v_add_co_ci_u32_e32 v4, vcc_lo, v4, v10, vcc_lo
	v_mul_hi_u32 v15, v7, v2
	v_mad_u64_u32 v[11:12], null, v8, v2, 0
	v_mad_u64_u32 v[9:10], null, v7, v4, 0
	v_mad_u64_u32 v[13:14], null, v8, v4, 0
	v_add_co_u32 v2, vcc_lo, v15, v9
	v_add_co_ci_u32_e32 v4, vcc_lo, 0, v10, vcc_lo
	v_add_co_u32 v2, vcc_lo, v2, v11
	v_add_co_ci_u32_e32 v2, vcc_lo, v4, v12, vcc_lo
	v_add_co_ci_u32_e32 v4, vcc_lo, 0, v14, vcc_lo
	v_add_co_u32 v2, vcc_lo, v2, v13
	v_add_co_ci_u32_e32 v4, vcc_lo, 0, v4, vcc_lo
	v_mul_lo_u32 v11, s21, v2
	v_mad_u64_u32 v[9:10], null, s20, v2, 0
	v_mul_lo_u32 v12, s20, v4
	v_sub_co_u32 v9, vcc_lo, v7, v9
	v_add3_u32 v10, v10, v12, v11
	v_sub_nc_u32_e32 v11, v8, v10
	v_subrev_co_ci_u32_e64 v11, s0, s21, v11, vcc_lo
	v_add_co_u32 v12, s0, v2, 2
	v_add_co_ci_u32_e64 v13, s0, 0, v4, s0
	v_sub_co_u32 v14, s0, v9, s20
	v_sub_co_ci_u32_e32 v10, vcc_lo, v8, v10, vcc_lo
	v_subrev_co_ci_u32_e64 v11, s0, 0, v11, s0
	v_cmp_le_u32_e32 vcc_lo, s20, v14
	v_cmp_eq_u32_e64 s0, s21, v10
	v_cndmask_b32_e64 v14, 0, -1, vcc_lo
	v_cmp_le_u32_e32 vcc_lo, s21, v11
	v_cndmask_b32_e64 v15, 0, -1, vcc_lo
	v_cmp_le_u32_e32 vcc_lo, s20, v9
	;; [unrolled: 2-line block ×3, first 2 shown]
	v_cndmask_b32_e64 v16, 0, -1, vcc_lo
	v_cmp_eq_u32_e32 vcc_lo, s21, v11
	v_cndmask_b32_e64 v9, v16, v9, s0
	v_cndmask_b32_e32 v11, v15, v14, vcc_lo
	v_add_co_u32 v14, vcc_lo, v2, 1
	v_add_co_ci_u32_e32 v15, vcc_lo, 0, v4, vcc_lo
	v_cmp_ne_u32_e32 vcc_lo, 0, v11
	v_cndmask_b32_e32 v10, v15, v13, vcc_lo
	v_cndmask_b32_e32 v11, v14, v12, vcc_lo
	v_cmp_ne_u32_e32 vcc_lo, 0, v9
	v_cndmask_b32_e32 v10, v4, v10, vcc_lo
	v_cndmask_b32_e32 v9, v2, v11, vcc_lo
.LBB0_4:                                ;   in Loop: Header=BB0_2 Depth=1
	s_andn2_saveexec_b32 s0, s1
	s_cbranch_execz .LBB0_6
; %bb.5:                                ;   in Loop: Header=BB0_2 Depth=1
	v_cvt_f32_u32_e32 v2, s20
	s_sub_i32 s1, 0, s20
	v_rcp_iflag_f32_e32 v2, v2
	v_mul_f32_e32 v2, 0x4f7ffffe, v2
	v_cvt_u32_f32_e32 v2, v2
	v_mul_lo_u32 v4, s1, v2
	v_mul_hi_u32 v4, v2, v4
	v_add_nc_u32_e32 v2, v2, v4
	v_mul_hi_u32 v2, v7, v2
	v_mul_lo_u32 v4, v2, s20
	v_add_nc_u32_e32 v9, 1, v2
	v_sub_nc_u32_e32 v4, v7, v4
	v_subrev_nc_u32_e32 v10, s20, v4
	v_cmp_le_u32_e32 vcc_lo, s20, v4
	v_cndmask_b32_e32 v4, v4, v10, vcc_lo
	v_cndmask_b32_e32 v2, v2, v9, vcc_lo
	v_mov_b32_e32 v10, v1
	v_cmp_le_u32_e32 vcc_lo, s20, v4
	v_add_nc_u32_e32 v9, 1, v2
	v_cndmask_b32_e32 v9, v2, v9, vcc_lo
.LBB0_6:                                ;   in Loop: Header=BB0_2 Depth=1
	s_or_b32 exec_lo, exec_lo, s0
	s_load_dwordx2 s[0:1], s[6:7], 0x0
	v_mul_lo_u32 v2, v10, s20
	v_mul_lo_u32 v4, v9, s21
	v_mad_u64_u32 v[11:12], null, v9, s20, 0
	s_add_u32 s18, s18, 1
	s_addc_u32 s19, s19, 0
	s_add_u32 s6, s6, 8
	s_addc_u32 s7, s7, 0
	s_add_u32 s16, s16, 8
	s_addc_u32 s17, s17, 0
	v_add3_u32 v2, v12, v4, v2
	v_sub_co_u32 v4, vcc_lo, v7, v11
	v_sub_co_ci_u32_e32 v2, vcc_lo, v8, v2, vcc_lo
	s_waitcnt lgkmcnt(0)
	v_mul_lo_u32 v7, s1, v4
	v_mul_lo_u32 v2, s0, v2
	v_mad_u64_u32 v[5:6], null, s0, v4, v[5:6]
	v_cmp_ge_u64_e64 s0, s[18:19], s[10:11]
	s_and_b32 vcc_lo, exec_lo, s0
	v_add3_u32 v6, v7, v6, v2
	s_cbranch_vccnz .LBB0_8
; %bb.7:                                ;   in Loop: Header=BB0_2 Depth=1
	v_mov_b32_e32 v7, v9
	v_mov_b32_e32 v8, v10
	s_branch .LBB0_2
.LBB0_8:
	s_lshl_b64 s[0:1], s[10:11], 3
                                        ; implicit-def: $vgpr8
	s_add_u32 s0, s14, s0
	s_addc_u32 s1, s15, s1
	s_load_dwordx2 s[0:1], s[0:1], 0x0
	s_load_dwordx2 s[4:5], s[4:5], 0x20
	s_waitcnt lgkmcnt(0)
	v_mul_lo_u32 v4, s0, v10
	v_mul_lo_u32 v7, s1, v9
	v_mad_u64_u32 v[1:2], null, s0, v9, v[5:6]
	v_mul_hi_u32 v5, 0x7507508, v0
	v_cmp_gt_u64_e32 vcc_lo, s[4:5], v[9:10]
                                        ; implicit-def: $vgpr6
	v_add3_u32 v2, v7, v2, v4
                                        ; implicit-def: $vgpr7
	v_mul_u32_u24_e32 v4, 35, v5
                                        ; implicit-def: $vgpr5
	v_lshlrev_b64 v[1:2], 2, v[1:2]
	v_sub_nc_u32_e32 v0, v0, v4
                                        ; implicit-def: $vgpr4
	s_and_saveexec_b32 s1, vcc_lo
	s_cbranch_execz .LBB0_10
; %bb.9:
	v_add_nc_u32_e32 v13, 35, v0
	v_add_nc_u32_e32 v15, 0x46, v0
	v_mad_u64_u32 v[4:5], null, s12, v0, 0
	v_add_nc_u32_e32 v17, 0x69, v0
	v_mad_u64_u32 v[6:7], null, s12, v13, 0
	v_mad_u64_u32 v[8:9], null, s12, v15, 0
	v_add_nc_u32_e32 v18, 0x8c, v0
	v_add_co_u32 v19, s0, s2, v1
	v_add_co_ci_u32_e64 v20, s0, s3, v2, s0
	v_mad_u64_u32 v[10:11], null, s13, v0, v[5:6]
	v_mov_b32_e32 v5, v7
	v_mov_b32_e32 v7, v9
	v_mad_u64_u32 v[11:12], null, s12, v17, 0
	v_mad_u64_u32 v[13:14], null, s13, v13, v[5:6]
	;; [unrolled: 1-line block ×4, first 2 shown]
	v_mov_b32_e32 v5, v10
	v_mov_b32_e32 v10, v12
	;; [unrolled: 1-line block ×4, first 2 shown]
	v_lshlrev_b64 v[4:5], 2, v[4:5]
	v_mad_u64_u32 v[12:13], null, s13, v17, v[10:11]
	v_mov_b32_e32 v10, v16
	v_lshlrev_b64 v[6:7], 2, v[6:7]
	v_lshlrev_b64 v[8:9], 2, v[8:9]
	v_add_co_u32 v4, s0, v19, v4
	v_mad_u64_u32 v[13:14], null, s13, v18, v[10:11]
	v_add_co_ci_u32_e64 v5, s0, v20, v5, s0
	v_add_co_u32 v6, s0, v19, v6
	v_add_co_ci_u32_e64 v7, s0, v20, v7, s0
	v_mov_b32_e32 v16, v13
	v_lshlrev_b64 v[10:11], 2, v[11:12]
	v_add_co_u32 v12, s0, v19, v8
	v_add_co_ci_u32_e64 v13, s0, v20, v9, s0
	v_lshlrev_b64 v[8:9], 2, v[15:16]
	v_add_co_u32 v10, s0, v19, v10
	v_add_co_ci_u32_e64 v11, s0, v20, v11, s0
	v_add_co_u32 v14, s0, v19, v8
	v_add_co_ci_u32_e64 v15, s0, v20, v9, s0
	s_clause 0x4
	global_load_dword v5, v[4:5], off
	global_load_dword v8, v[6:7], off
	;; [unrolled: 1-line block ×5, first 2 shown]
.LBB0_10:
	s_or_b32 exec_lo, exec_lo, s1
	v_mul_hi_u32 v9, 0x24924925, v3
	s_waitcnt vmcnt(3)
	v_pk_add_f16 v10, v5, v8
	s_waitcnt vmcnt(1)
	v_pk_add_f16 v12, v7, v6
	s_waitcnt vmcnt(0)
	v_pk_add_f16 v13, v8, v4 neg_lo:[0,1] neg_hi:[0,1]
	v_pk_add_f16 v14, v7, v6 neg_lo:[0,1] neg_hi:[0,1]
	v_pk_add_f16 v17, v8, v4
	v_pk_add_f16 v15, v8, v7 neg_lo:[0,1] neg_hi:[0,1]
	v_pk_add_f16 v16, v4, v6 neg_lo:[0,1] neg_hi:[0,1]
	v_sub_nc_u32_e32 v11, v3, v9
	v_pk_add_f16 v8, v7, v8 neg_lo:[0,1] neg_hi:[0,1]
	v_pk_add_f16 v7, v10, v7
	v_pk_fma_f16 v10, v12, 0.5, v5 op_sel_hi:[1,0,1] neg_lo:[1,0,0] neg_hi:[1,0,0]
	v_pk_mul_f16 v12, 0x3b9c, v13 op_sel_hi:[0,1]
	v_lshrrev_b32_e32 v11, 1, v11
	v_pk_mul_f16 v20, 0x38b4, v14 op_sel_hi:[0,1]
	v_pk_fma_f16 v5, v17, 0.5, v5 op_sel_hi:[1,0,1] neg_lo:[1,0,0] neg_hi:[1,0,0]
	v_pk_mul_f16 v14, 0x3b9c, v14 op_sel_hi:[0,1]
	v_pk_add_f16 v18, v6, v4 neg_lo:[0,1] neg_hi:[0,1]
	v_add_nc_u32_e32 v9, v11, v9
	v_and_b32_e32 v11, 0xff, v0
	v_pk_add_f16 v15, v15, v16
	v_pk_mul_f16 v13, 0x38b4, v13 op_sel_hi:[0,1]
	v_pk_add_f16 v6, v7, v6
	v_lshrrev_b32_e32 v9, 2, v9
	v_mul_lo_u16 v11, 0xcd, v11
	v_pk_add_f16 v7, v10, v12 op_sel:[0,1] op_sel_hi:[1,0] neg_lo:[0,1] neg_hi:[0,1]
	v_pk_add_f16 v10, v10, v12 op_sel:[0,1] op_sel_hi:[1,0]
	v_pk_add_f16 v4, v4, v6
	v_mul_lo_u32 v9, v9, 7
	v_lshrrev_b16 v16, 10, v11
	v_pk_add_f16 v7, v7, v20 op_sel:[0,1] op_sel_hi:[1,0] neg_lo:[0,1] neg_hi:[0,1]
	v_pk_add_f16 v10, v10, v20 op_sel:[0,1] op_sel_hi:[1,0]
	v_mov_b32_e32 v19, 4
	v_pk_add_f16 v8, v8, v18
	v_mul_lo_u16 v6, v16, 5
	v_cmp_gt_u32_e64 s0, 25, v0
	v_sub_nc_u32_e32 v3, v3, v9
	v_pk_add_f16 v9, v5, v14 op_sel:[0,1] op_sel_hi:[1,0]
	v_pk_add_f16 v5, v5, v14 op_sel:[0,1] op_sel_hi:[1,0] neg_lo:[0,1] neg_hi:[0,1]
	v_bfi_b32 v11, 0xffff, v7, v10
	v_sub_nc_u16 v6, v0, v6
	v_mul_u32_u24_e32 v3, 0xaf, v3
	v_pk_add_f16 v9, v9, v13 op_sel:[0,1] op_sel_hi:[1,0] neg_lo:[0,1] neg_hi:[0,1]
	v_pk_add_f16 v5, v5, v13 op_sel:[0,1] op_sel_hi:[1,0]
	v_bfi_b32 v7, 0xffff, v10, v7
	v_lshlrev_b32_e32 v3, 2, v3
	v_bfi_b32 v12, 0xffff, v9, v5
	v_bfi_b32 v5, 0xffff, v5, v9
	v_pk_fma_f16 v9, 0x34f2, v15, v11 op_sel_hi:[0,1,1]
	v_add_nc_u32_e32 v17, 0, v3
	v_pk_fma_f16 v7, 0x34f2, v15, v7 op_sel_hi:[0,1,1]
	v_pk_fma_f16 v10, 0x34f2, v8, v12 op_sel_hi:[0,1,1]
	;; [unrolled: 1-line block ×3, first 2 shown]
	v_lshlrev_b32_sdwa v8, v19, v6 dst_sel:DWORD dst_unused:UNUSED_PAD src0_sel:DWORD src1_sel:BYTE_0
	v_mad_u32_u24 v18, v0, 20, v17
	v_mov_b32_e32 v15, 2
	v_lshl_add_u32 v17, v0, 2, v17
	ds_write2_b32 v18, v4, v9 offset1:1
	ds_write2_b32 v18, v10, v5 offset0:2 offset1:3
	ds_write_b32 v18, v7 offset:16
	s_waitcnt lgkmcnt(0)
	s_barrier
	buffer_gl0_inv
	global_load_dwordx4 v[11:14], v8, s[8:9]
	v_lshlrev_b32_e32 v4, 4, v0
	v_and_b32_e32 v10, 0xffff, v16
	v_lshlrev_b32_sdwa v6, v15, v6 dst_sel:DWORD dst_unused:UNUSED_PAD src0_sel:DWORD src1_sel:BYTE_0
	v_sub_nc_u32_e32 v7, v18, v4
	ds_read2_b32 v[4:5], v7 offset0:35 offset1:70
	ds_read2_b32 v[8:9], v7 offset0:105 offset1:140
	v_mad_u32_u24 v10, 0x64, v10, 0
	v_add3_u32 v15, v10, v6, v3
	ds_read_b32 v3, v17
	ds_read_u16 v10, v17 offset:2
	s_waitcnt vmcnt(0) lgkmcnt(0)
	s_barrier
	buffer_gl0_inv
	v_lshrrev_b32_e32 v6, 16, v4
	v_lshrrev_b32_e32 v16, 16, v5
	;; [unrolled: 1-line block ×4, first 2 shown]
	v_mul_f16_sdwa v20, v11, v6 dst_sel:DWORD dst_unused:UNUSED_PAD src0_sel:WORD_1 src1_sel:DWORD
	v_mul_f16_sdwa v21, v11, v4 dst_sel:DWORD dst_unused:UNUSED_PAD src0_sel:WORD_1 src1_sel:DWORD
	;; [unrolled: 1-line block ×8, first 2 shown]
	v_fmac_f16_e32 v20, v11, v4
	v_fma_f16 v4, v11, v6, -v21
	v_fmac_f16_e32 v22, v12, v5
	v_fma_f16 v5, v12, v16, -v23
	;; [unrolled: 2-line block ×4, first 2 shown]
	v_add_f16_e32 v6, v20, v3
	v_add_f16_e32 v9, v22, v24
	v_sub_f16_e32 v12, v20, v22
	v_sub_f16_e32 v13, v26, v24
	v_add_f16_e32 v25, v5, v11
	v_add_f16_e32 v14, v20, v26
	;; [unrolled: 1-line block ×3, first 2 shown]
	v_sub_f16_e32 v16, v4, v8
	v_sub_f16_e32 v19, v22, v20
	v_add_f16_e32 v23, v10, v4
	v_sub_f16_e32 v20, v20, v26
	v_sub_f16_e32 v27, v22, v24
	;; [unrolled: 1-line block ×4, first 2 shown]
	v_add_f16_e32 v6, v6, v22
	v_fma_f16 v4, -0.5, v9, v3
	v_add_f16_e32 v22, v12, v13
	v_fma_f16 v12, -0.5, v25, v10
	v_sub_f16_e32 v18, v5, v11
	v_fmac_f16_e32 v3, -0.5, v14
	v_fmac_f16_e32 v10, -0.5, v30
	v_sub_f16_e32 v21, v24, v26
	v_sub_f16_e32 v29, v8, v11
	v_add_f16_e32 v9, v23, v5
	v_fmamk_f16 v5, v16, 0xbb9c, v4
	v_fmamk_f16 v13, v20, 0x3b9c, v12
	v_sub_f16_e32 v32, v11, v8
	v_add_f16_e32 v24, v6, v24
	v_fmamk_f16 v6, v18, 0x3b9c, v3
	v_fmac_f16_e32 v3, 0xbb9c, v18
	v_fmamk_f16 v14, v27, 0xbb9c, v10
	v_fmac_f16_e32 v10, 0x3b9c, v27
	v_fmac_f16_e32 v4, 0x3b9c, v16
	;; [unrolled: 1-line block ×3, first 2 shown]
	v_add_f16_e32 v19, v19, v21
	v_add_f16_e32 v21, v28, v29
	;; [unrolled: 1-line block ×3, first 2 shown]
	v_fmac_f16_e32 v5, 0xb8b4, v18
	v_fmac_f16_e32 v13, 0x38b4, v27
	v_add_f16_e32 v23, v31, v32
	v_fmac_f16_e32 v6, 0xb8b4, v16
	v_fmac_f16_e32 v3, 0x38b4, v16
	;; [unrolled: 1-line block ×6, first 2 shown]
	v_add_f16_e32 v9, v24, v26
	v_add_f16_e32 v11, v11, v8
	v_fmac_f16_e32 v5, 0x34f2, v22
	v_fmac_f16_e32 v13, 0x34f2, v21
	;; [unrolled: 1-line block ×8, first 2 shown]
	v_pack_b32_f16 v8, v9, v11
	v_pack_b32_f16 v16, v5, v13
	;; [unrolled: 1-line block ×5, first 2 shown]
	ds_write2_b32 v15, v8, v16 offset1:5
	ds_write2_b32 v15, v18, v19 offset0:10 offset1:15
	ds_write_b32 v15, v20 offset:80
	s_waitcnt lgkmcnt(0)
	s_barrier
	buffer_gl0_inv
                                        ; implicit-def: $vgpr16
                                        ; implicit-def: $vgpr8
                                        ; implicit-def: $vgpr15
	s_and_saveexec_b32 s1, s0
	s_cbranch_execnz .LBB0_13
; %bb.11:
	s_or_b32 exec_lo, exec_lo, s1
	s_and_b32 s0, vcc_lo, s0
	s_and_saveexec_b32 s1, s0
	s_cbranch_execnz .LBB0_14
.LBB0_12:
	s_endpgm
.LBB0_13:
	ds_read_b32 v9, v17
	ds_read2_b32 v[5:6], v7 offset0:25 offset1:50
	ds_read2_b32 v[3:4], v7 offset0:75 offset1:100
	;; [unrolled: 1-line block ×3, first 2 shown]
	s_waitcnt lgkmcnt(3)
	v_lshrrev_b32_e32 v11, 16, v9
	s_waitcnt lgkmcnt(2)
	v_lshrrev_b32_e32 v13, 16, v5
	v_lshrrev_b32_e32 v14, 16, v6
	s_waitcnt lgkmcnt(1)
	v_lshrrev_b32_e32 v10, 16, v3
	;; [unrolled: 3-line block ×3, first 2 shown]
	v_lshrrev_b32_e32 v16, 16, v8
	s_or_b32 exec_lo, exec_lo, s1
	s_and_b32 s0, vcc_lo, s0
	s_and_saveexec_b32 s1, s0
	s_cbranch_execz .LBB0_12
.LBB0_14:
	v_mul_u32_u24_e32 v17, 6, v0
	v_add_nc_u32_e32 v39, 25, v0
	v_add_nc_u32_e32 v40, 50, v0
	v_mad_u64_u32 v[23:24], null, s12, v0, 0
	v_lshlrev_b32_e32 v21, 2, v17
	v_mad_u64_u32 v[25:26], null, s12, v39, 0
	v_add_nc_u32_e32 v41, 0x4b, v0
	v_mad_u64_u32 v[27:28], null, s12, v40, 0
	s_clause 0x1
	global_load_dwordx4 v[17:20], v21, s[8:9] offset:80
	global_load_dwordx2 v[21:22], v21, s[8:9] offset:96
	v_add_nc_u32_e32 v42, 0x64, v0
	v_mad_u64_u32 v[29:30], null, s12, v41, 0
	v_add_nc_u32_e32 v43, 0x7d, v0
	v_add_nc_u32_e32 v44, 0x96, v0
	v_mad_u64_u32 v[37:38], null, s13, v0, v[24:25]
	v_mov_b32_e32 v0, v26
	v_mad_u64_u32 v[31:32], null, s12, v42, 0
	v_mov_b32_e32 v24, v28
	v_mad_u64_u32 v[33:34], null, s12, v43, 0
	v_mad_u64_u32 v[38:39], null, s13, v39, v[0:1]
	v_mov_b32_e32 v26, v30
	v_mad_u64_u32 v[35:36], null, s12, v44, 0
	v_mad_u64_u32 v[39:40], null, s13, v40, v[24:25]
	v_mov_b32_e32 v28, v32
	v_mov_b32_e32 v24, v37
	v_mad_u64_u32 v[40:41], null, s13, v41, v[26:27]
	v_mov_b32_e32 v30, v34
	v_mov_b32_e32 v26, v38
	v_mad_u64_u32 v[41:42], null, s13, v42, v[28:29]
	v_mov_b32_e32 v32, v36
	v_add_co_u32 v37, vcc_lo, s2, v1
	v_lshlrev_b64 v[0:1], 2, v[23:24]
	v_mov_b32_e32 v28, v39
	v_mad_u64_u32 v[42:43], null, s13, v43, v[30:31]
	v_add_co_ci_u32_e32 v2, vcc_lo, s3, v2, vcc_lo
	v_lshlrev_b64 v[23:24], 2, v[25:26]
	v_mov_b32_e32 v30, v40
	v_mad_u64_u32 v[43:44], null, s13, v44, v[32:33]
	v_lshlrev_b64 v[25:26], 2, v[27:28]
	v_add_co_u32 v0, vcc_lo, v37, v0
	v_mov_b32_e32 v32, v41
	v_add_co_ci_u32_e32 v1, vcc_lo, v2, v1, vcc_lo
	v_lshlrev_b64 v[27:28], 2, v[29:30]
	v_add_co_u32 v23, vcc_lo, v37, v23
	v_mov_b32_e32 v34, v42
	v_add_co_ci_u32_e32 v24, vcc_lo, v2, v24, vcc_lo
	;; [unrolled: 4-line block ×3, first 2 shown]
	v_lshlrev_b64 v[31:32], 2, v[33:34]
	v_add_co_u32 v27, vcc_lo, v37, v27
	v_add_co_ci_u32_e32 v28, vcc_lo, v2, v28, vcc_lo
	v_lshlrev_b64 v[33:34], 2, v[35:36]
	v_add_co_u32 v29, vcc_lo, v37, v29
	v_add_co_ci_u32_e32 v30, vcc_lo, v2, v30, vcc_lo
	v_add_co_u32 v31, vcc_lo, v37, v31
	v_add_co_ci_u32_e32 v32, vcc_lo, v2, v32, vcc_lo
	;; [unrolled: 2-line block ×3, first 2 shown]
	s_waitcnt vmcnt(1)
	v_mul_f16_sdwa v2, v13, v17 dst_sel:DWORD dst_unused:UNUSED_PAD src0_sel:DWORD src1_sel:WORD_1
	s_waitcnt vmcnt(0)
	v_mul_f16_sdwa v35, v16, v22 dst_sel:DWORD dst_unused:UNUSED_PAD src0_sel:DWORD src1_sel:WORD_1
	v_mul_f16_sdwa v36, v12, v20 dst_sel:DWORD dst_unused:UNUSED_PAD src0_sel:DWORD src1_sel:WORD_1
	;; [unrolled: 1-line block ×11, first 2 shown]
	v_fmac_f16_e32 v2, v5, v17
	v_fmac_f16_e32 v35, v8, v22
	;; [unrolled: 1-line block ×6, first 2 shown]
	v_fma_f16 v3, v16, v22, -v40
	v_fma_f16 v4, v13, v17, -v41
	v_fma_f16 v7, v15, v21, -v44
	v_fma_f16 v8, v14, v18, -v45
	v_fma_f16 v5, v10, v19, -v42
	v_fma_f16 v6, v12, v20, -v43
	v_sub_f16_e32 v10, v2, v35
	v_add_f16_e32 v14, v4, v3
	v_add_f16_e32 v16, v8, v7
	;; [unrolled: 1-line block ×4, first 2 shown]
	v_sub_f16_e32 v12, v36, v37
	v_sub_f16_e32 v13, v38, v39
	v_add_f16_e32 v15, v6, v5
	v_add_f16_e32 v17, v36, v37
	v_sub_f16_e32 v3, v4, v3
	v_sub_f16_e32 v4, v6, v5
	;; [unrolled: 1-line block ×3, first 2 shown]
	v_add_f16_e32 v20, v14, v16
	v_add_f16_e32 v35, v2, v18
	v_sub_f16_e32 v6, v10, v12
	v_sub_f16_e32 v7, v12, v13
	v_add_f16_e32 v8, v12, v13
	v_sub_f16_e32 v12, v14, v15
	v_sub_f16_e32 v19, v15, v16
	;; [unrolled: 1-line block ×6, first 2 shown]
	v_add_f16_e32 v4, v4, v5
	v_sub_f16_e32 v13, v13, v10
	v_sub_f16_e32 v5, v5, v3
	v_add_f16_e32 v15, v15, v20
	v_add_f16_e32 v17, v17, v35
	v_sub_f16_e32 v14, v16, v14
	v_sub_f16_e32 v2, v18, v2
	v_mul_f16_e32 v7, 0x3846, v7
	v_add_f16_e32 v8, v10, v8
	v_mul_f16_e32 v10, 0x3a52, v12
	v_mul_f16_e32 v16, 0x2b26, v19
	;; [unrolled: 1-line block ×5, first 2 shown]
	v_add_f16_e32 v3, v3, v4
	v_mul_f16_e32 v4, 0xbb00, v13
	v_mul_f16_e32 v22, 0xbb00, v5
	v_add_f16_e32 v11, v11, v15
	v_add_f16_e32 v9, v9, v17
	v_fmamk_f16 v35, v6, 0xb574, v7
	v_fmamk_f16 v12, v12, 0x3a52, v16
	;; [unrolled: 1-line block ×4, first 2 shown]
	v_fma_f16 v4, v6, 0x3574, -v4
	v_fma_f16 v6, v14, 0xb9e0, -v10
	;; [unrolled: 1-line block ×6, first 2 shown]
	v_fmamk_f16 v13, v15, 0xbcab, v11
	v_fmamk_f16 v15, v17, 0xbcab, v9
	v_fma_f16 v14, v14, 0x39e0, -v16
	v_fma_f16 v2, v2, 0x39e0, -v19
	v_fmac_f16_e32 v35, 0xb70e, v8
	v_fmac_f16_e32 v37, 0xb70e, v3
	;; [unrolled: 1-line block ×6, first 2 shown]
	v_pack_b32_f16 v3, v9, v11
	v_add_f16_e32 v8, v12, v13
	v_add_f16_e32 v9, v21, v15
	;; [unrolled: 1-line block ×6, first 2 shown]
	global_store_dword v[0:1], v3, off
	v_add_f16_e32 v0, v35, v8
	v_add_f16_e32 v3, v4, v6
	v_sub_f16_e32 v4, v6, v4
	v_sub_f16_e32 v6, v8, v35
	v_add_f16_e32 v8, v37, v9
	v_sub_f16_e32 v1, v9, v37
	v_add_f16_e32 v9, v18, v10
	;; [unrolled: 2-line block ×4, first 2 shown]
	v_sub_f16_e32 v5, v10, v18
	v_pack_b32_f16 v6, v8, v6
	v_pack_b32_f16 v4, v9, v4
	;; [unrolled: 1-line block ×6, first 2 shown]
	global_store_dword v[23:24], v6, off
	global_store_dword v[25:26], v4, off
	;; [unrolled: 1-line block ×6, first 2 shown]
	s_endpgm
	.section	.rodata,"a",@progbits
	.p2align	6, 0x0
	.amdhsa_kernel fft_rtc_back_len175_factors_5_5_7_wgs_245_tpt_35_half_ip_CI_sbrr_dirReg
		.amdhsa_group_segment_fixed_size 0
		.amdhsa_private_segment_fixed_size 0
		.amdhsa_kernarg_size 88
		.amdhsa_user_sgpr_count 6
		.amdhsa_user_sgpr_private_segment_buffer 1
		.amdhsa_user_sgpr_dispatch_ptr 0
		.amdhsa_user_sgpr_queue_ptr 0
		.amdhsa_user_sgpr_kernarg_segment_ptr 1
		.amdhsa_user_sgpr_dispatch_id 0
		.amdhsa_user_sgpr_flat_scratch_init 0
		.amdhsa_user_sgpr_private_segment_size 0
		.amdhsa_wavefront_size32 1
		.amdhsa_uses_dynamic_stack 0
		.amdhsa_system_sgpr_private_segment_wavefront_offset 0
		.amdhsa_system_sgpr_workgroup_id_x 1
		.amdhsa_system_sgpr_workgroup_id_y 0
		.amdhsa_system_sgpr_workgroup_id_z 0
		.amdhsa_system_sgpr_workgroup_info 0
		.amdhsa_system_vgpr_workitem_id 0
		.amdhsa_next_free_vgpr 46
		.amdhsa_next_free_sgpr 23
		.amdhsa_reserve_vcc 1
		.amdhsa_reserve_flat_scratch 0
		.amdhsa_float_round_mode_32 0
		.amdhsa_float_round_mode_16_64 0
		.amdhsa_float_denorm_mode_32 3
		.amdhsa_float_denorm_mode_16_64 3
		.amdhsa_dx10_clamp 1
		.amdhsa_ieee_mode 1
		.amdhsa_fp16_overflow 0
		.amdhsa_workgroup_processor_mode 1
		.amdhsa_memory_ordered 1
		.amdhsa_forward_progress 0
		.amdhsa_shared_vgpr_count 0
		.amdhsa_exception_fp_ieee_invalid_op 0
		.amdhsa_exception_fp_denorm_src 0
		.amdhsa_exception_fp_ieee_div_zero 0
		.amdhsa_exception_fp_ieee_overflow 0
		.amdhsa_exception_fp_ieee_underflow 0
		.amdhsa_exception_fp_ieee_inexact 0
		.amdhsa_exception_int_div_zero 0
	.end_amdhsa_kernel
	.text
.Lfunc_end0:
	.size	fft_rtc_back_len175_factors_5_5_7_wgs_245_tpt_35_half_ip_CI_sbrr_dirReg, .Lfunc_end0-fft_rtc_back_len175_factors_5_5_7_wgs_245_tpt_35_half_ip_CI_sbrr_dirReg
                                        ; -- End function
	.section	.AMDGPU.csdata,"",@progbits
; Kernel info:
; codeLenInByte = 3912
; NumSgprs: 25
; NumVgprs: 46
; ScratchSize: 0
; MemoryBound: 0
; FloatMode: 240
; IeeeMode: 1
; LDSByteSize: 0 bytes/workgroup (compile time only)
; SGPRBlocks: 3
; VGPRBlocks: 5
; NumSGPRsForWavesPerEU: 25
; NumVGPRsForWavesPerEU: 46
; Occupancy: 16
; WaveLimiterHint : 1
; COMPUTE_PGM_RSRC2:SCRATCH_EN: 0
; COMPUTE_PGM_RSRC2:USER_SGPR: 6
; COMPUTE_PGM_RSRC2:TRAP_HANDLER: 0
; COMPUTE_PGM_RSRC2:TGID_X_EN: 1
; COMPUTE_PGM_RSRC2:TGID_Y_EN: 0
; COMPUTE_PGM_RSRC2:TGID_Z_EN: 0
; COMPUTE_PGM_RSRC2:TIDIG_COMP_CNT: 0
	.text
	.p2alignl 6, 3214868480
	.fill 48, 4, 3214868480
	.type	__hip_cuid_fc37a678a914b305,@object ; @__hip_cuid_fc37a678a914b305
	.section	.bss,"aw",@nobits
	.globl	__hip_cuid_fc37a678a914b305
__hip_cuid_fc37a678a914b305:
	.byte	0                               ; 0x0
	.size	__hip_cuid_fc37a678a914b305, 1

	.ident	"AMD clang version 19.0.0git (https://github.com/RadeonOpenCompute/llvm-project roc-6.4.0 25133 c7fe45cf4b819c5991fe208aaa96edf142730f1d)"
	.section	".note.GNU-stack","",@progbits
	.addrsig
	.addrsig_sym __hip_cuid_fc37a678a914b305
	.amdgpu_metadata
---
amdhsa.kernels:
  - .args:
      - .actual_access:  read_only
        .address_space:  global
        .offset:         0
        .size:           8
        .value_kind:     global_buffer
      - .offset:         8
        .size:           8
        .value_kind:     by_value
      - .actual_access:  read_only
        .address_space:  global
        .offset:         16
        .size:           8
        .value_kind:     global_buffer
      - .actual_access:  read_only
        .address_space:  global
        .offset:         24
        .size:           8
        .value_kind:     global_buffer
      - .offset:         32
        .size:           8
        .value_kind:     by_value
      - .actual_access:  read_only
        .address_space:  global
        .offset:         40
        .size:           8
        .value_kind:     global_buffer
      - .actual_access:  read_only
        .address_space:  global
        .offset:         48
        .size:           8
        .value_kind:     global_buffer
      - .offset:         56
        .size:           4
        .value_kind:     by_value
      - .actual_access:  read_only
        .address_space:  global
        .offset:         64
        .size:           8
        .value_kind:     global_buffer
      - .actual_access:  read_only
        .address_space:  global
        .offset:         72
        .size:           8
        .value_kind:     global_buffer
      - .address_space:  global
        .offset:         80
        .size:           8
        .value_kind:     global_buffer
    .group_segment_fixed_size: 0
    .kernarg_segment_align: 8
    .kernarg_segment_size: 88
    .language:       OpenCL C
    .language_version:
      - 2
      - 0
    .max_flat_workgroup_size: 245
    .name:           fft_rtc_back_len175_factors_5_5_7_wgs_245_tpt_35_half_ip_CI_sbrr_dirReg
    .private_segment_fixed_size: 0
    .sgpr_count:     25
    .sgpr_spill_count: 0
    .symbol:         fft_rtc_back_len175_factors_5_5_7_wgs_245_tpt_35_half_ip_CI_sbrr_dirReg.kd
    .uniform_work_group_size: 1
    .uses_dynamic_stack: false
    .vgpr_count:     46
    .vgpr_spill_count: 0
    .wavefront_size: 32
    .workgroup_processor_mode: 1
amdhsa.target:   amdgcn-amd-amdhsa--gfx1030
amdhsa.version:
  - 1
  - 2
...

	.end_amdgpu_metadata
